;; amdgpu-corpus repo=ROCm/rocFFT kind=compiled arch=gfx1030 opt=O3
	.text
	.amdgcn_target "amdgcn-amd-amdhsa--gfx1030"
	.amdhsa_code_object_version 6
	.protected	fft_rtc_fwd_len264_factors_8_3_11_wgs_231_tpt_33_half_op_CI_CI_unitstride_sbrr_dirReg ; -- Begin function fft_rtc_fwd_len264_factors_8_3_11_wgs_231_tpt_33_half_op_CI_CI_unitstride_sbrr_dirReg
	.globl	fft_rtc_fwd_len264_factors_8_3_11_wgs_231_tpt_33_half_op_CI_CI_unitstride_sbrr_dirReg
	.p2align	8
	.type	fft_rtc_fwd_len264_factors_8_3_11_wgs_231_tpt_33_half_op_CI_CI_unitstride_sbrr_dirReg,@function
fft_rtc_fwd_len264_factors_8_3_11_wgs_231_tpt_33_half_op_CI_CI_unitstride_sbrr_dirReg: ; @fft_rtc_fwd_len264_factors_8_3_11_wgs_231_tpt_33_half_op_CI_CI_unitstride_sbrr_dirReg
; %bb.0:
	s_load_dwordx4 s[12:15], s[4:5], 0x0
	v_mul_u32_u24_e32 v1, 0x7c2, v0
	s_clause 0x1
	s_load_dwordx4 s[8:11], s[4:5], 0x58
	s_load_dwordx4 s[16:19], s[4:5], 0x18
	v_mov_b32_e32 v8, 0
	v_mov_b32_e32 v6, 0
	;; [unrolled: 1-line block ×3, first 2 shown]
	v_lshrrev_b32_e32 v1, 16, v1
	v_mad_u64_u32 v[4:5], null, s6, 7, v[1:2]
	v_mov_b32_e32 v5, v8
	v_mov_b32_e32 v1, v6
	;; [unrolled: 1-line block ×5, first 2 shown]
	s_waitcnt lgkmcnt(0)
	v_cmp_lt_u64_e64 s0, s[14:15], 2
	s_and_b32 vcc_lo, exec_lo, s0
	s_cbranch_vccnz .LBB0_8
; %bb.1:
	s_load_dwordx2 s[0:1], s[4:5], 0x10
	v_mov_b32_e32 v6, 0
	v_mov_b32_e32 v7, 0
	s_add_u32 s2, s18, 8
	v_mov_b32_e32 v12, v5
	s_addc_u32 s3, s19, 0
	v_mov_b32_e32 v1, v6
	v_mov_b32_e32 v11, v4
	s_add_u32 s6, s16, 8
	v_mov_b32_e32 v2, v7
	s_addc_u32 s7, s17, 0
	s_mov_b64 s[22:23], 1
	s_waitcnt lgkmcnt(0)
	s_add_u32 s20, s0, 8
	s_addc_u32 s21, s1, 0
.LBB0_2:                                ; =>This Inner Loop Header: Depth=1
	s_load_dwordx2 s[24:25], s[20:21], 0x0
	s_waitcnt lgkmcnt(0)
	v_or_b32_e32 v9, s25, v12
	v_cmp_ne_u64_e32 vcc_lo, 0, v[8:9]
                                        ; implicit-def: $vgpr9_vgpr10
	s_and_saveexec_b32 s0, vcc_lo
	s_xor_b32 s1, exec_lo, s0
	s_cbranch_execz .LBB0_4
; %bb.3:                                ;   in Loop: Header=BB0_2 Depth=1
	v_cvt_f32_u32_e32 v3, s24
	v_cvt_f32_u32_e32 v5, s25
	s_sub_u32 s0, 0, s24
	s_subb_u32 s26, 0, s25
	v_fmac_f32_e32 v3, 0x4f800000, v5
	v_rcp_f32_e32 v3, v3
	v_mul_f32_e32 v3, 0x5f7ffffc, v3
	v_mul_f32_e32 v5, 0x2f800000, v3
	v_trunc_f32_e32 v5, v5
	v_fmac_f32_e32 v3, 0xcf800000, v5
	v_cvt_u32_f32_e32 v5, v5
	v_cvt_u32_f32_e32 v3, v3
	v_mul_lo_u32 v9, s0, v5
	v_mul_hi_u32 v10, s0, v3
	v_mul_lo_u32 v13, s26, v3
	v_add_nc_u32_e32 v9, v10, v9
	v_mul_lo_u32 v10, s0, v3
	v_add_nc_u32_e32 v9, v9, v13
	v_mul_hi_u32 v13, v3, v10
	v_mul_lo_u32 v14, v3, v9
	v_mul_hi_u32 v15, v3, v9
	v_mul_hi_u32 v16, v5, v10
	v_mul_lo_u32 v10, v5, v10
	v_mul_hi_u32 v17, v5, v9
	v_mul_lo_u32 v9, v5, v9
	v_add_co_u32 v13, vcc_lo, v13, v14
	v_add_co_ci_u32_e32 v14, vcc_lo, 0, v15, vcc_lo
	v_add_co_u32 v10, vcc_lo, v13, v10
	v_add_co_ci_u32_e32 v10, vcc_lo, v14, v16, vcc_lo
	v_add_co_ci_u32_e32 v13, vcc_lo, 0, v17, vcc_lo
	v_add_co_u32 v9, vcc_lo, v10, v9
	v_add_co_ci_u32_e32 v10, vcc_lo, 0, v13, vcc_lo
	v_add_co_u32 v3, vcc_lo, v3, v9
	v_add_co_ci_u32_e32 v5, vcc_lo, v5, v10, vcc_lo
	v_mul_hi_u32 v9, s0, v3
	v_mul_lo_u32 v13, s26, v3
	v_mul_lo_u32 v10, s0, v5
	v_add_nc_u32_e32 v9, v9, v10
	v_mul_lo_u32 v10, s0, v3
	v_add_nc_u32_e32 v9, v9, v13
	v_mul_hi_u32 v13, v3, v10
	v_mul_lo_u32 v14, v3, v9
	v_mul_hi_u32 v15, v3, v9
	v_mul_hi_u32 v16, v5, v10
	v_mul_lo_u32 v10, v5, v10
	v_mul_hi_u32 v17, v5, v9
	v_mul_lo_u32 v9, v5, v9
	v_add_co_u32 v13, vcc_lo, v13, v14
	v_add_co_ci_u32_e32 v14, vcc_lo, 0, v15, vcc_lo
	v_add_co_u32 v10, vcc_lo, v13, v10
	v_add_co_ci_u32_e32 v10, vcc_lo, v14, v16, vcc_lo
	v_add_co_ci_u32_e32 v13, vcc_lo, 0, v17, vcc_lo
	v_add_co_u32 v9, vcc_lo, v10, v9
	v_add_co_ci_u32_e32 v10, vcc_lo, 0, v13, vcc_lo
	v_add_co_u32 v3, vcc_lo, v3, v9
	v_add_co_ci_u32_e32 v5, vcc_lo, v5, v10, vcc_lo
	v_mul_hi_u32 v17, v11, v3
	v_mad_u64_u32 v[13:14], null, v12, v3, 0
	v_mad_u64_u32 v[9:10], null, v11, v5, 0
	;; [unrolled: 1-line block ×3, first 2 shown]
	v_add_co_u32 v3, vcc_lo, v17, v9
	v_add_co_ci_u32_e32 v5, vcc_lo, 0, v10, vcc_lo
	v_add_co_u32 v3, vcc_lo, v3, v13
	v_add_co_ci_u32_e32 v3, vcc_lo, v5, v14, vcc_lo
	v_add_co_ci_u32_e32 v5, vcc_lo, 0, v16, vcc_lo
	v_add_co_u32 v3, vcc_lo, v3, v15
	v_add_co_ci_u32_e32 v5, vcc_lo, 0, v5, vcc_lo
	v_mul_lo_u32 v13, s25, v3
	v_mad_u64_u32 v[9:10], null, s24, v3, 0
	v_mul_lo_u32 v14, s24, v5
	v_sub_co_u32 v9, vcc_lo, v11, v9
	v_add3_u32 v10, v10, v14, v13
	v_sub_nc_u32_e32 v13, v12, v10
	v_subrev_co_ci_u32_e64 v13, s0, s25, v13, vcc_lo
	v_add_co_u32 v14, s0, v3, 2
	v_add_co_ci_u32_e64 v15, s0, 0, v5, s0
	v_sub_co_u32 v16, s0, v9, s24
	v_sub_co_ci_u32_e32 v10, vcc_lo, v12, v10, vcc_lo
	v_subrev_co_ci_u32_e64 v13, s0, 0, v13, s0
	v_cmp_le_u32_e32 vcc_lo, s24, v16
	v_cmp_eq_u32_e64 s0, s25, v10
	v_cndmask_b32_e64 v16, 0, -1, vcc_lo
	v_cmp_le_u32_e32 vcc_lo, s25, v13
	v_cndmask_b32_e64 v17, 0, -1, vcc_lo
	v_cmp_le_u32_e32 vcc_lo, s24, v9
	;; [unrolled: 2-line block ×3, first 2 shown]
	v_cndmask_b32_e64 v18, 0, -1, vcc_lo
	v_cmp_eq_u32_e32 vcc_lo, s25, v13
	v_cndmask_b32_e64 v9, v18, v9, s0
	v_cndmask_b32_e32 v13, v17, v16, vcc_lo
	v_add_co_u32 v16, vcc_lo, v3, 1
	v_add_co_ci_u32_e32 v17, vcc_lo, 0, v5, vcc_lo
	v_cmp_ne_u32_e32 vcc_lo, 0, v13
	v_cndmask_b32_e32 v10, v17, v15, vcc_lo
	v_cndmask_b32_e32 v13, v16, v14, vcc_lo
	v_cmp_ne_u32_e32 vcc_lo, 0, v9
	v_cndmask_b32_e32 v10, v5, v10, vcc_lo
	v_cndmask_b32_e32 v9, v3, v13, vcc_lo
.LBB0_4:                                ;   in Loop: Header=BB0_2 Depth=1
	s_andn2_saveexec_b32 s0, s1
	s_cbranch_execz .LBB0_6
; %bb.5:                                ;   in Loop: Header=BB0_2 Depth=1
	v_cvt_f32_u32_e32 v3, s24
	s_sub_i32 s1, 0, s24
	v_rcp_iflag_f32_e32 v3, v3
	v_mul_f32_e32 v3, 0x4f7ffffe, v3
	v_cvt_u32_f32_e32 v3, v3
	v_mul_lo_u32 v5, s1, v3
	v_mul_hi_u32 v5, v3, v5
	v_add_nc_u32_e32 v3, v3, v5
	v_mul_hi_u32 v3, v11, v3
	v_mul_lo_u32 v5, v3, s24
	v_add_nc_u32_e32 v9, 1, v3
	v_sub_nc_u32_e32 v5, v11, v5
	v_subrev_nc_u32_e32 v10, s24, v5
	v_cmp_le_u32_e32 vcc_lo, s24, v5
	v_cndmask_b32_e32 v5, v5, v10, vcc_lo
	v_cndmask_b32_e32 v3, v3, v9, vcc_lo
	v_mov_b32_e32 v10, v8
	v_cmp_le_u32_e32 vcc_lo, s24, v5
	v_add_nc_u32_e32 v9, 1, v3
	v_cndmask_b32_e32 v9, v3, v9, vcc_lo
.LBB0_6:                                ;   in Loop: Header=BB0_2 Depth=1
	s_or_b32 exec_lo, exec_lo, s0
	v_mul_lo_u32 v3, v10, s24
	v_mul_lo_u32 v5, v9, s25
	s_load_dwordx2 s[0:1], s[6:7], 0x0
	v_mad_u64_u32 v[13:14], null, v9, s24, 0
	s_load_dwordx2 s[24:25], s[2:3], 0x0
	s_add_u32 s22, s22, 1
	s_addc_u32 s23, s23, 0
	s_add_u32 s2, s2, 8
	s_addc_u32 s3, s3, 0
	s_add_u32 s6, s6, 8
	v_add3_u32 v3, v14, v5, v3
	v_sub_co_u32 v5, vcc_lo, v11, v13
	s_addc_u32 s7, s7, 0
	s_add_u32 s20, s20, 8
	v_sub_co_ci_u32_e32 v3, vcc_lo, v12, v3, vcc_lo
	s_addc_u32 s21, s21, 0
	s_waitcnt lgkmcnt(0)
	v_mul_lo_u32 v11, s0, v3
	v_mul_lo_u32 v12, s1, v5
	v_mad_u64_u32 v[6:7], null, s0, v5, v[6:7]
	v_mul_lo_u32 v3, s24, v3
	v_mul_lo_u32 v13, s25, v5
	v_mad_u64_u32 v[1:2], null, s24, v5, v[1:2]
	v_cmp_ge_u64_e64 s0, s[22:23], s[14:15]
	v_add3_u32 v7, v12, v7, v11
	v_add3_u32 v2, v13, v2, v3
	s_and_b32 vcc_lo, exec_lo, s0
	s_cbranch_vccnz .LBB0_8
; %bb.7:                                ;   in Loop: Header=BB0_2 Depth=1
	v_mov_b32_e32 v12, v10
	v_mov_b32_e32 v11, v9
	s_branch .LBB0_2
.LBB0_8:
	s_load_dwordx2 s[0:1], s[4:5], 0x28
	v_mul_hi_u32 v8, 0x7c1f07d, v0
	s_lshl_b64 s[4:5], s[14:15], 3
                                        ; implicit-def: $sgpr6
                                        ; implicit-def: $vgpr3
	s_add_u32 s2, s18, s4
	s_addc_u32 s3, s19, s5
	s_waitcnt lgkmcnt(0)
	v_cmp_gt_u64_e32 vcc_lo, s[0:1], v[9:10]
	v_cmp_le_u64_e64 s0, s[0:1], v[9:10]
	s_and_saveexec_b32 s1, s0
	s_xor_b32 s0, exec_lo, s1
; %bb.9:
	v_mul_u32_u24_e32 v3, 33, v8
	s_mov_b32 s6, 0
                                        ; implicit-def: $vgpr8
                                        ; implicit-def: $vgpr6_vgpr7
	v_sub_nc_u32_e32 v3, v0, v3
                                        ; implicit-def: $vgpr0
; %bb.10:
	s_or_saveexec_b32 s1, s0
	v_mov_b32_e32 v5, s6
	v_mov_b32_e32 v12, s6
	;; [unrolled: 1-line block ×4, first 2 shown]
                                        ; implicit-def: $vgpr15
                                        ; implicit-def: $vgpr17
                                        ; implicit-def: $vgpr14
                                        ; implicit-def: $vgpr16
	s_xor_b32 exec_lo, exec_lo, s1
	s_cbranch_execz .LBB0_12
; %bb.11:
	s_add_u32 s4, s16, s4
	s_addc_u32 s5, s17, s5
	s_load_dwordx2 s[4:5], s[4:5], 0x0
	s_waitcnt lgkmcnt(0)
	v_mul_lo_u32 v3, s5, v9
	v_mul_lo_u32 v5, s4, v10
	v_mad_u64_u32 v[11:12], null, s4, v9, 0
	v_add3_u32 v12, v12, v5, v3
	v_mul_u32_u24_e32 v3, 33, v8
	v_lshlrev_b64 v[5:6], 2, v[6:7]
	v_lshlrev_b64 v[11:12], 2, v[11:12]
	v_sub_nc_u32_e32 v3, v0, v3
	v_lshlrev_b32_e32 v8, 2, v3
	v_add_co_u32 v0, s0, s8, v11
	v_add_co_ci_u32_e64 v7, s0, s9, v12, s0
	v_add_co_u32 v0, s0, v0, v5
	v_add_co_ci_u32_e64 v5, s0, v7, v6, s0
	;; [unrolled: 2-line block ×3, first 2 shown]
	s_clause 0x7
	global_load_dword v5, v[6:7], off
	global_load_dword v11, v[6:7], off offset:132
	global_load_dword v12, v[6:7], off offset:264
	;; [unrolled: 1-line block ×7, first 2 shown]
.LBB0_12:
	s_or_b32 exec_lo, exec_lo, s1
	v_mul_hi_u32 v0, 0x24924925, v4
	s_waitcnt vmcnt(3)
	v_pk_add_f16 v6, v5, v15 neg_lo:[0,1] neg_hi:[0,1]
	s_waitcnt vmcnt(2)
	v_pk_add_f16 v8, v11, v14 op_sel:[1,1] op_sel_hi:[0,0] neg_lo:[0,1] neg_hi:[0,1]
	s_waitcnt vmcnt(1)
	v_pk_add_f16 v7, v12, v17 neg_lo:[0,1] neg_hi:[0,1]
	s_waitcnt vmcnt(0)
	v_pk_add_f16 v14, v13, v16 op_sel:[1,1] op_sel_hi:[0,0] neg_lo:[0,1] neg_hi:[0,1]
	s_load_dwordx2 s[2:3], s[2:3], 0x0
	v_lshrrev_b32_e32 v17, 16, v6
	v_lshrrev_b32_e32 v18, 16, v8
	v_sub_nc_u32_e32 v15, v4, v0
	v_pk_fma_f16 v5, v5, 2.0, v6 op_sel_hi:[1,0,1] neg_lo:[0,0,1] neg_hi:[0,0,1]
	v_pk_fma_f16 v12, v12, 2.0, v7 op_sel_hi:[1,0,1] neg_lo:[0,0,1] neg_hi:[0,0,1]
	v_pk_fma_f16 v11, v11, 2.0, v8 op_sel:[1,0,0] op_sel_hi:[0,0,1] neg_lo:[0,0,1] neg_hi:[0,0,1]
	v_pk_fma_f16 v13, v13, 2.0, v14 op_sel:[1,0,0] op_sel_hi:[0,0,1] neg_lo:[0,0,1] neg_hi:[0,0,1]
	v_lshrrev_b32_e32 v15, 1, v15
	v_sub_f16_sdwa v16, v6, v7 dst_sel:DWORD dst_unused:UNUSED_PAD src0_sel:DWORD src1_sel:WORD_1
	v_sub_f16_e32 v21, v18, v14
	v_add_f16_sdwa v19, v8, v14 dst_sel:DWORD dst_unused:UNUSED_PAD src0_sel:DWORD src1_sel:WORD_1
	v_add_f16_e32 v20, v17, v7
	v_add_nc_u32_e32 v0, v15, v0
	v_pk_add_f16 v12, v5, v12 neg_lo:[0,1] neg_hi:[0,1]
	v_fma_f16 v6, v6, 2.0, -v16
	v_pk_add_f16 v7, v11, v13 neg_lo:[0,1] neg_hi:[0,1]
	v_fma_f16 v15, v18, 2.0, -v21
	v_lshrrev_b32_e32 v0, 2, v0
	v_fma_f16 v8, v8, 2.0, -v19
	v_fma_f16 v17, v17, 2.0, -v20
	v_pk_add_f16 v18, v12, v7
	v_pk_add_f16 v22, v12, v7 neg_lo:[0,1] neg_hi:[0,1]
	v_mul_lo_u32 v0, v0, 7
	v_fmamk_f16 v24, v15, 0xb9a8, v6
	v_pk_fma_f16 v5, v5, 2.0, v12 op_sel_hi:[1,0,1] neg_lo:[0,0,1] neg_hi:[0,0,1]
	v_pk_fma_f16 v7, v11, 2.0, v7 op_sel_hi:[1,0,1] neg_lo:[0,0,1] neg_hi:[0,0,1]
	v_fmamk_f16 v11, v8, 0xb9a8, v17
	v_lshrrev_b32_e32 v23, 16, v12
	v_fmac_f16_e32 v24, 0xb9a8, v8
	v_fmamk_f16 v14, v21, 0x39a8, v16
	v_sub_nc_u32_e32 v0, v4, v0
	v_lshrrev_b32_e32 v4, 16, v18
	v_pk_add_f16 v8, v5, v7 op_sel:[0,1] op_sel_hi:[1,0] neg_lo:[0,1] neg_hi:[0,1]
	v_fmac_f16_e32 v11, 0x39a8, v15
	v_bfi_b32 v13, 0xffff, v22, v18
	v_mul_u32_u24_e32 v15, 0x108, v0
	v_fma_f16 v0, v23, 2.0, -v4
	v_fmamk_f16 v7, v19, 0x39a8, v20
	v_lshrrev_b32_e32 v4, 16, v5
	v_lshrrev_b32_e32 v18, 16, v8
	v_pack_b32_f16 v12, v17, v12
	v_pack_b32_f16 v17, v11, v22
	v_fmac_f16_e32 v14, 0xb9a8, v19
	v_fmac_f16_e32 v7, 0x39a8, v21
	v_fma_f16 v4, v4, 2.0, -v18
	v_fma_f16 v6, v6, 2.0, -v24
	v_lshl_add_u32 v18, v15, 2, 0
	v_pk_fma_f16 v12, v12, 2.0, v17 op_sel_hi:[1,0,1] neg_lo:[0,0,1] neg_hi:[0,0,1]
	v_fma_f16 v16, v16, 2.0, -v14
	v_fma_f16 v5, v5, 2.0, -v8
	v_lshlrev_b32_e32 v4, 16, v4
	v_fma_f16 v17, v20, 2.0, -v7
	v_lshl_add_u32 v19, v3, 5, v18
	v_alignbit_b32 v0, v0, v12, 16
	v_pack_b32_f16 v6, v6, v12
	v_or_b32_sdwa v4, v4, v5 dst_sel:DWORD dst_unused:UNUSED_PAD src0_sel:DWORD src1_sel:WORD_0
	v_pack_b32_f16 v5, v16, v17
	v_pack_b32_f16 v11, v24, v11
	;; [unrolled: 1-line block ×3, first 2 shown]
	ds_write2_b32 v19, v6, v0 offset0:1 offset1:2
	ds_write2_b32 v19, v5, v8 offset0:3 offset1:4
	;; [unrolled: 1-line block ×3, first 2 shown]
	ds_write2_b32 v19, v4, v12 offset1:7
	v_mad_i32_i24 v0, 0xffffffe4, v3, v19
	v_lshl_add_u32 v4, v3, 2, v18
	s_waitcnt lgkmcnt(0)
	s_barrier
	buffer_gl0_inv
	ds_read2_b32 v[5:6], v0 offset0:33 offset1:88
	ds_read2_b32 v[11:12], v0 offset0:121 offset1:176
	ds_read_b32 v8, v4
	ds_read_u16 v19, v4 offset:2
	ds_read_b32 v18, v0 offset:836
	v_cmp_gt_u32_e64 s0, 22, v3
                                        ; implicit-def: $vgpr21
                                        ; implicit-def: $vgpr17
	s_and_saveexec_b32 s1, s0
	s_cbranch_execz .LBB0_14
; %bb.13:
	ds_read2_b32 v[13:14], v0 offset0:66 offset1:154
	ds_read_b32 v17, v0 offset:968
	s_waitcnt lgkmcnt(1)
	v_lshrrev_b32_e32 v7, 16, v14
	s_waitcnt lgkmcnt(0)
	v_lshrrev_b32_e32 v21, 16, v17
.LBB0_14:
	s_or_b32 exec_lo, exec_lo, s1
	v_and_b32_e32 v24, 7, v3
	v_add_nc_u32_e32 v20, 33, v3
	v_add_nc_u32_e32 v16, 0x42, v3
	v_lshrrev_b32_e32 v31, 3, v3
	s_waitcnt lgkmcnt(4)
	v_lshrrev_b32_e32 v33, 16, v6
	v_lshlrev_b32_e32 v22, 3, v24
	v_and_b32_e32 v30, 7, v20
	v_and_b32_e32 v25, 7, v16
	v_mul_u32_u24_e32 v31, 24, v31
	v_lshrrev_b32_e32 v32, 3, v20
	global_load_dwordx2 v[22:23], v22, s[12:13]
	v_lshlrev_b32_e32 v26, 3, v30
	v_lshlrev_b32_e32 v28, 3, v25
	v_or_b32_e32 v24, v31, v24
	v_mul_u32_u24_e32 v31, 24, v32
	s_clause 0x1
	global_load_dwordx2 v[26:27], v26, s[12:13]
	global_load_dwordx2 v[28:29], v28, s[12:13]
	s_waitcnt lgkmcnt(3)
	v_lshrrev_b32_e32 v32, 16, v12
	v_lshlrev_b32_e32 v15, 2, v15
	v_lshlrev_b32_e32 v24, 2, v24
	v_or_b32_e32 v30, v31, v30
	v_lshrrev_b32_e32 v34, 16, v11
	s_waitcnt lgkmcnt(0)
	v_lshrrev_b32_e32 v31, 16, v18
	v_lshrrev_b32_e32 v20, 16, v5
	v_add3_u32 v35, 0, v24, v15
	v_lshlrev_b32_e32 v24, 2, v30
	s_waitcnt vmcnt(0)
	s_barrier
	buffer_gl0_inv
	v_add3_u32 v39, 0, v24, v15
	v_mul_f16_sdwa v30, v22, v33 dst_sel:DWORD dst_unused:UNUSED_PAD src0_sel:WORD_1 src1_sel:DWORD
	v_mul_f16_sdwa v36, v22, v6 dst_sel:DWORD dst_unused:UNUSED_PAD src0_sel:WORD_1 src1_sel:DWORD
	v_mul_f16_sdwa v37, v23, v32 dst_sel:DWORD dst_unused:UNUSED_PAD src0_sel:WORD_1 src1_sel:DWORD
	v_mul_f16_sdwa v38, v23, v12 dst_sel:DWORD dst_unused:UNUSED_PAD src0_sel:WORD_1 src1_sel:DWORD
	v_mul_f16_sdwa v24, v27, v31 dst_sel:DWORD dst_unused:UNUSED_PAD src0_sel:WORD_1 src1_sel:DWORD
	v_fma_f16 v6, v22, v6, -v30
	v_fmac_f16_e32 v36, v22, v33
	v_fma_f16 v12, v23, v12, -v37
	v_fmac_f16_e32 v38, v23, v32
	v_mul_f16_sdwa v22, v26, v34 dst_sel:DWORD dst_unused:UNUSED_PAD src0_sel:WORD_1 src1_sel:DWORD
	v_mul_f16_sdwa v30, v27, v18 dst_sel:DWORD dst_unused:UNUSED_PAD src0_sel:WORD_1 src1_sel:DWORD
	v_pk_mul_f16 v7, v7, v28 op_sel_hi:[0,1]
	v_pk_mul_f16 v21, v21, v29 op_sel_hi:[0,1]
	v_mul_f16_sdwa v23, v26, v11 dst_sel:DWORD dst_unused:UNUSED_PAD src0_sel:WORD_1 src1_sel:DWORD
	v_fma_f16 v11, v26, v11, -v22
	v_fma_f16 v22, v27, v18, -v24
	v_fmac_f16_e32 v30, v27, v31
	v_add_f16_e32 v24, v6, v12
	v_add_f16_e32 v31, v36, v38
	v_pk_fma_f16 v32, v14, v28, v7 op_sel:[0,0,1] op_sel_hi:[0,1,0]
	v_pk_fma_f16 v7, v14, v28, v7 op_sel:[0,0,1] op_sel_hi:[0,1,0] neg_lo:[0,0,1] neg_hi:[0,0,1]
	v_pk_fma_f16 v14, v17, v29, v21 op_sel:[0,0,1] op_sel_hi:[0,1,0]
	v_pk_fma_f16 v21, v17, v29, v21 op_sel:[0,0,1] op_sel_hi:[0,1,0] neg_lo:[0,0,1] neg_hi:[0,0,1]
	v_add_f16_e32 v18, v6, v8
	v_add_f16_e32 v27, v19, v36
	v_sub_f16_e32 v6, v6, v12
	v_fmac_f16_e32 v8, -0.5, v24
	v_fmac_f16_e32 v19, -0.5, v31
	v_add_f16_e32 v24, v11, v22
	v_bfi_b32 v31, 0xffff, v7, v32
	v_bfi_b32 v14, 0xffff, v21, v14
	v_fmac_f16_e32 v23, v26, v34
	v_sub_f16_e32 v26, v36, v38
	v_add_f16_e32 v18, v18, v12
	v_add_f16_e32 v12, v5, v11
	v_fmamk_f16 v21, v6, 0xbaee, v19
	v_fmac_f16_e32 v19, 0x3aee, v6
	v_fmac_f16_e32 v5, -0.5, v24
	v_pk_add_f16 v6, v31, v14
	v_pk_add_f16 v24, v31, v14 neg_lo:[0,1] neg_hi:[0,1]
	v_add_f16_e32 v17, v27, v38
	v_sub_f16_e32 v27, v23, v30
	v_add_f16_e32 v28, v20, v23
	v_add_f16_e32 v23, v23, v30
	v_fmamk_f16 v7, v26, 0x3aee, v8
	v_fmac_f16_e32 v8, 0xbaee, v26
	v_pk_add_f16 v26, v13, v31
	v_pk_fma_f16 v13, v6, -0.5, v13 op_sel_hi:[1,0,1]
	v_pk_mul_f16 v24, 0x3aee, v24 op_sel_hi:[0,1]
	v_sub_f16_e32 v29, v11, v22
	v_fmac_f16_e32 v20, -0.5, v23
	v_pk_add_f16 v6, v26, v14
	v_add_f16_e32 v11, v12, v22
	v_pk_add_f16 v14, v13, v24 op_sel:[0,1] op_sel_hi:[1,0] neg_lo:[0,1] neg_hi:[0,1]
	v_pk_add_f16 v13, v24, v13 op_sel:[1,0] op_sel_hi:[0,1]
	v_add_f16_e32 v22, v28, v30
	v_fmamk_f16 v12, v27, 0x3aee, v5
	v_fmamk_f16 v23, v29, 0xbaee, v20
	v_fmac_f16_e32 v5, 0xbaee, v27
	v_fmac_f16_e32 v20, 0x3aee, v29
	v_pack_b32_f16 v28, v18, v17
	v_pack_b32_f16 v26, v7, v21
	v_lshrrev_b32_e32 v24, 16, v14
	v_bfi_b32 v14, 0xffff, v14, v13
	v_pack_b32_f16 v27, v8, v19
	v_pack_b32_f16 v29, v11, v22
	;; [unrolled: 1-line block ×4, first 2 shown]
	ds_write2_b32 v35, v28, v26 offset1:8
	ds_write_b32 v35, v27 offset:64
	ds_write2_b32 v39, v29, v30 offset1:8
	ds_write_b32 v39, v31 offset:64
	s_and_saveexec_b32 s1, s0
	s_cbranch_execz .LBB0_16
; %bb.15:
	v_lshrrev_b32_e32 v16, 3, v16
	v_mul_u32_u24_e32 v16, 24, v16
	v_or_b32_e32 v16, v16, v25
	v_perm_b32 v25, v24, v13, 0x5040100
	v_lshlrev_b32_e32 v16, 2, v16
	v_add3_u32 v15, 0, v16, v15
	ds_write2_b32 v15, v6, v25 offset1:8
	ds_write_b32 v15, v14 offset:64
.LBB0_16:
	s_or_b32 exec_lo, exec_lo, s1
	v_cmp_gt_u32_e64 s0, 24, v3
	v_lshrrev_b32_e32 v26, 16, v6
	s_waitcnt lgkmcnt(0)
	s_barrier
	buffer_gl0_inv
                                        ; implicit-def: $vgpr28
                                        ; implicit-def: $vgpr16
                                        ; implicit-def: $vgpr25
	s_and_saveexec_b32 s1, s0
	s_cbranch_execz .LBB0_18
; %bb.17:
	ds_read_b32 v18, v4
	ds_read2_b32 v[15:16], v0 offset0:216 offset1:240
	ds_read2_b32 v[7:8], v0 offset0:24 offset1:48
	;; [unrolled: 1-line block ×5, first 2 shown]
	s_waitcnt lgkmcnt(5)
	v_lshrrev_b32_e32 v17, 16, v18
	s_waitcnt lgkmcnt(4)
	v_lshrrev_b32_e32 v25, 16, v15
	v_lshrrev_b32_e32 v28, 16, v16
	s_waitcnt lgkmcnt(3)
	v_lshrrev_b32_e32 v21, 16, v7
	;; [unrolled: 3-line block ×5, first 2 shown]
.LBB0_18:
	s_or_b32 exec_lo, exec_lo, s1
	v_cmp_gt_u32_e64 s1, 24, v3
	s_and_b32 s1, vcc_lo, s1
	s_and_saveexec_b32 s4, s1
	s_cbranch_execz .LBB0_20
; %bb.19:
	v_subrev_nc_u32_e32 v0, 24, v3
	v_mov_b32_e32 v38, 0
	v_mul_lo_u32 v4, s2, v10
	v_cndmask_b32_e64 v0, v0, v3, s0
	v_mul_i32_i24_e32 v37, 10, v0
	v_mul_lo_u32 v0, s3, v9
	v_mad_u64_u32 v[9:10], null, s2, v9, 0
	v_lshlrev_b64 v[29:30], 2, v[37:38]
	v_add3_u32 v10, v10, v4, v0
	v_add_co_u32 v34, vcc_lo, s12, v29
	v_add_co_ci_u32_e32 v35, vcc_lo, s13, v30, vcc_lo
	v_lshlrev_b64 v[9:10], 2, v[9:10]
	v_lshlrev_b64 v[0:1], 2, v[1:2]
	v_mov_b32_e32 v4, v38
	s_clause 0x2
	global_load_dwordx2 v[39:40], v[34:35], off offset:96
	global_load_dwordx4 v[30:33], v[34:35], off offset:64
	global_load_dwordx4 v[34:37], v[34:35], off offset:80
	v_add_co_u32 v9, vcc_lo, s10, v9
	v_add_co_ci_u32_e32 v10, vcc_lo, s11, v10, vcc_lo
	v_lshlrev_b64 v[2:3], 2, v[3:4]
	v_add_co_u32 v0, vcc_lo, v9, v0
	v_add_co_ci_u32_e32 v1, vcc_lo, v10, v1, vcc_lo
	v_add_co_u32 v0, vcc_lo, v0, v2
	v_add_co_ci_u32_e32 v1, vcc_lo, v1, v3, vcc_lo
	s_waitcnt vmcnt(2)
	v_lshrrev_b32_e32 v38, 16, v40
	s_waitcnt vmcnt(1)
	v_lshrrev_b32_e32 v41, 16, v30
	v_lshrrev_b32_e32 v4, 16, v39
	v_mul_f16_e32 v2, v28, v40
	v_lshrrev_b32_e32 v42, 16, v31
	v_lshrrev_b32_e32 v43, 16, v32
	v_mul_f16_e32 v45, v21, v30
	v_mul_f16_e32 v3, v25, v39
	s_waitcnt vmcnt(0)
	v_lshrrev_b32_e32 v49, 16, v36
	v_mul_f16_e32 v21, v21, v41
	v_mul_f16_e32 v28, v28, v38
	v_lshrrev_b32_e32 v44, 16, v33
	v_mul_f16_e32 v46, v19, v31
	v_lshrrev_b32_e32 v47, 16, v34
	v_lshrrev_b32_e32 v48, 16, v35
	;; [unrolled: 1-line block ×3, first 2 shown]
	v_mul_f16_sdwa v9, v14, v37 dst_sel:DWORD dst_unused:UNUSED_PAD src0_sel:WORD_1 src1_sel:DWORD
	v_mul_f16_e32 v51, v22, v32
	v_mul_f16_e32 v10, v24, v36
	;; [unrolled: 1-line block ×5, first 2 shown]
	v_fmac_f16_e32 v45, v7, v41
	v_fmac_f16_e32 v3, v15, v4
	v_mul_f16_e32 v19, v19, v42
	v_mul_f16_e32 v25, v25, v4
	;; [unrolled: 1-line block ×4, first 2 shown]
	v_fma_f16 v21, v7, v30, -v21
	v_fma_f16 v4, v16, v40, -v28
	v_fmac_f16_e32 v2, v16, v38
	v_fmac_f16_e32 v46, v8, v42
	;; [unrolled: 1-line block ×4, first 2 shown]
	v_mul_f16_sdwa v38, v14, v50 dst_sel:DWORD dst_unused:UNUSED_PAD src0_sel:WORD_1 src1_sel:DWORD
	v_fmac_f16_e32 v10, v13, v49
	v_fmac_f16_e32 v52, v12, v44
	v_mul_f16_e32 v23, v23, v44
	v_fmac_f16_e32 v27, v6, v48
	v_fmac_f16_e32 v29, v5, v47
	v_mul_f16_e32 v20, v20, v47
	v_mul_f16_e32 v26, v26, v48
	v_fma_f16 v16, v8, v31, -v19
	v_fma_f16 v7, v15, v39, -v25
	;; [unrolled: 1-line block ×4, first 2 shown]
	v_add_f16_e32 v24, v17, v45
	v_add_f16_e32 v31, v4, v21
	v_sub_f16_e32 v59, v21, v4
	v_add_f16_e32 v21, v18, v21
	v_fma_f16 v8, v14, v37, -v38
	v_fma_f16 v12, v12, v33, -v23
	;; [unrolled: 1-line block ×4, first 2 shown]
	v_sub_f16_e32 v6, v45, v2
	v_sub_f16_e32 v14, v46, v3
	;; [unrolled: 1-line block ×5, first 2 shown]
	v_add_f16_e32 v23, v2, v45
	v_add_f16_e32 v25, v3, v46
	;; [unrolled: 1-line block ×7, first 2 shown]
	v_sub_f16_e32 v46, v16, v7
	v_add_f16_e32 v16, v21, v16
	v_mul_f16_e32 v32, 0xba0c, v6
	v_mul_f16_e32 v34, 0x3beb, v14
	v_add_f16_e32 v35, v8, v15
	v_mul_f16_e32 v36, 0xb853, v19
	v_add_f16_e32 v37, v11, v12
	v_mul_f16_e32 v38, 0xb482, v20
	v_mul_f16_e32 v39, 0xb482, v6
	;; [unrolled: 1-line block ×22, first 2 shown]
	v_add_f16_e32 v58, v5, v13
	v_mul_f16_e32 v60, 0xbbad, v23
	v_mul_f16_e32 v61, 0xb93d, v23
	;; [unrolled: 1-line block ×4, first 2 shown]
	v_sub_f16_e32 v64, v15, v8
	v_mul_f16_e32 v65, 0xb93d, v26
	v_mul_f16_e32 v66, 0x3abb, v26
	v_sub_f16_e32 v67, v12, v11
	v_mul_f16_e32 v68, 0x36a6, v28
	v_mul_f16_e32 v69, 0xbbad, v28
	;; [unrolled: 3-line block ×3, first 2 shown]
	v_add_f16_e32 v24, v24, v51
	v_add_f16_e32 v15, v16, v15
	v_fmamk_f16 v73, v31, 0xb93d, v32
	v_fmamk_f16 v74, v33, 0xb08e, v34
	;; [unrolled: 1-line block ×6, first 2 shown]
	v_fma_f16 v39, v31, 0xbbad, -v39
	v_fma_f16 v40, v33, 0x3abb, -v40
	;; [unrolled: 1-line block ×13, first 2 shown]
	v_fmac_f16_e32 v43, 0xb08e, v31
	v_fmac_f16_e32 v48, 0x36a6, v31
	v_fmac_f16_e32 v6, 0x3abb, v31
	v_fma_f16 v31, v33, 0x36a6, -v14
	v_fmac_f16_e32 v44, 0xbbad, v33
	v_fmac_f16_e32 v49, 0xb93d, v33
	;; [unrolled: 1-line block ×3, first 2 shown]
	v_fma_f16 v33, v35, 0xb08e, -v19
	v_fmac_f16_e32 v45, 0x36a6, v35
	v_fmac_f16_e32 v50, 0xbbad, v35
	;; [unrolled: 1-line block ×3, first 2 shown]
	v_fmamk_f16 v35, v37, 0x36a6, v42
	v_fma_f16 v42, v37, 0x36a6, -v42
	v_fmamk_f16 v86, v37, 0xbbad, v38
	v_fma_f16 v38, v37, 0xbbad, -v38
	v_fma_f16 v87, v37, 0x3abb, -v47
	v_fmac_f16_e32 v47, 0x3abb, v37
	v_fma_f16 v88, v37, 0xb08e, -v53
	v_fmac_f16_e32 v53, 0xb08e, v37
	;; [unrolled: 2-line block ×3, first 2 shown]
	v_fmamk_f16 v37, v58, 0xb08e, v55
	v_fma_f16 v55, v58, 0xb08e, -v55
	v_fmamk_f16 v90, v58, 0x36a6, v54
	v_fma_f16 v54, v58, 0x36a6, -v54
	v_fma_f16 v91, v58, 0xb93d, -v56
	v_fmac_f16_e32 v56, 0xb93d, v58
	v_fma_f16 v92, v58, 0x3abb, -v57
	v_fmac_f16_e32 v57, 0x3abb, v58
	;; [unrolled: 2-line block ×3, first 2 shown]
	v_fmamk_f16 v58, v59, 0x3482, v60
	v_fmac_f16_e32 v60, 0xb482, v59
	v_fmamk_f16 v94, v59, 0x3a0c, v61
	v_fmac_f16_e32 v61, 0xba0c, v59
	v_mul_f16_e32 v95, 0xbbeb, v59
	v_mul_f16_e32 v96, 0xbb47, v59
	v_mul_f16_e32 v59, 0xb853, v59
	v_fmamk_f16 v21, v46, 0xb853, v62
	v_fmac_f16_e32 v62, 0x3853, v46
	v_fmamk_f16 v97, v46, 0xbbeb, v63
	v_fmac_f16_e32 v63, 0x3beb, v46
	v_mul_f16_e32 v98, 0x3482, v46
	v_mul_f16_e32 v99, 0xba0c, v46
	v_mul_f16_e32 v46, 0xbb47, v46
	;; [unrolled: 7-line block ×5, first 2 shown]
	v_add_f16_e32 v24, v24, v52
	v_add_f16_e32 v12, v15, v12
	v_fmamk_f16 v111, v23, 0xb08e, v95
	v_fma_f16 v95, v23, 0xb08e, -v95
	v_fmamk_f16 v112, v23, 0x36a6, v96
	v_fma_f16 v96, v23, 0x36a6, -v96
	;; [unrolled: 2-line block ×15, first 2 shown]
	v_add_f16_e32 v70, v18, v73
	v_add_f16_e32 v73, v18, v76
	;; [unrolled: 1-line block ×112, first 2 shown]
	v_pack_b32_f16 v12, v26, v25
	v_pack_b32_f16 v3, v31, v22
	;; [unrolled: 1-line block ×10, first 2 shown]
	global_store_dword v[0:1], v12, off offset:384
	global_store_dword v[0:1], v15, off offset:480
	;; [unrolled: 1-line block ×4, first 2 shown]
	v_pack_b32_f16 v6, v6, v10
	global_store_dword v[0:1], v3, off offset:96
	global_store_dword v[0:1], v7, off offset:192
	global_store_dword v[0:1], v16, off offset:288
	global_store_dword v[0:1], v5, off offset:768
	global_store_dword v[0:1], v8, off offset:864
	global_store_dword v[0:1], v2, off
	global_store_dword v[0:1], v6, off offset:960
.LBB0_20:
	s_endpgm
	.section	.rodata,"a",@progbits
	.p2align	6, 0x0
	.amdhsa_kernel fft_rtc_fwd_len264_factors_8_3_11_wgs_231_tpt_33_half_op_CI_CI_unitstride_sbrr_dirReg
		.amdhsa_group_segment_fixed_size 0
		.amdhsa_private_segment_fixed_size 0
		.amdhsa_kernarg_size 104
		.amdhsa_user_sgpr_count 6
		.amdhsa_user_sgpr_private_segment_buffer 1
		.amdhsa_user_sgpr_dispatch_ptr 0
		.amdhsa_user_sgpr_queue_ptr 0
		.amdhsa_user_sgpr_kernarg_segment_ptr 1
		.amdhsa_user_sgpr_dispatch_id 0
		.amdhsa_user_sgpr_flat_scratch_init 0
		.amdhsa_user_sgpr_private_segment_size 0
		.amdhsa_wavefront_size32 1
		.amdhsa_uses_dynamic_stack 0
		.amdhsa_system_sgpr_private_segment_wavefront_offset 0
		.amdhsa_system_sgpr_workgroup_id_x 1
		.amdhsa_system_sgpr_workgroup_id_y 0
		.amdhsa_system_sgpr_workgroup_id_z 0
		.amdhsa_system_sgpr_workgroup_info 0
		.amdhsa_system_vgpr_workitem_id 0
		.amdhsa_next_free_vgpr 120
		.amdhsa_next_free_sgpr 27
		.amdhsa_reserve_vcc 1
		.amdhsa_reserve_flat_scratch 0
		.amdhsa_float_round_mode_32 0
		.amdhsa_float_round_mode_16_64 0
		.amdhsa_float_denorm_mode_32 3
		.amdhsa_float_denorm_mode_16_64 3
		.amdhsa_dx10_clamp 1
		.amdhsa_ieee_mode 1
		.amdhsa_fp16_overflow 0
		.amdhsa_workgroup_processor_mode 1
		.amdhsa_memory_ordered 1
		.amdhsa_forward_progress 0
		.amdhsa_shared_vgpr_count 0
		.amdhsa_exception_fp_ieee_invalid_op 0
		.amdhsa_exception_fp_denorm_src 0
		.amdhsa_exception_fp_ieee_div_zero 0
		.amdhsa_exception_fp_ieee_overflow 0
		.amdhsa_exception_fp_ieee_underflow 0
		.amdhsa_exception_fp_ieee_inexact 0
		.amdhsa_exception_int_div_zero 0
	.end_amdhsa_kernel
	.text
.Lfunc_end0:
	.size	fft_rtc_fwd_len264_factors_8_3_11_wgs_231_tpt_33_half_op_CI_CI_unitstride_sbrr_dirReg, .Lfunc_end0-fft_rtc_fwd_len264_factors_8_3_11_wgs_231_tpt_33_half_op_CI_CI_unitstride_sbrr_dirReg
                                        ; -- End function
	.section	.AMDGPU.csdata,"",@progbits
; Kernel info:
; codeLenInByte = 5484
; NumSgprs: 29
; NumVgprs: 120
; ScratchSize: 0
; MemoryBound: 0
; FloatMode: 240
; IeeeMode: 1
; LDSByteSize: 0 bytes/workgroup (compile time only)
; SGPRBlocks: 3
; VGPRBlocks: 14
; NumSGPRsForWavesPerEU: 29
; NumVGPRsForWavesPerEU: 120
; Occupancy: 8
; WaveLimiterHint : 1
; COMPUTE_PGM_RSRC2:SCRATCH_EN: 0
; COMPUTE_PGM_RSRC2:USER_SGPR: 6
; COMPUTE_PGM_RSRC2:TRAP_HANDLER: 0
; COMPUTE_PGM_RSRC2:TGID_X_EN: 1
; COMPUTE_PGM_RSRC2:TGID_Y_EN: 0
; COMPUTE_PGM_RSRC2:TGID_Z_EN: 0
; COMPUTE_PGM_RSRC2:TIDIG_COMP_CNT: 0
	.text
	.p2alignl 6, 3214868480
	.fill 48, 4, 3214868480
	.type	__hip_cuid_10e99bbb2604ae0d,@object ; @__hip_cuid_10e99bbb2604ae0d
	.section	.bss,"aw",@nobits
	.globl	__hip_cuid_10e99bbb2604ae0d
__hip_cuid_10e99bbb2604ae0d:
	.byte	0                               ; 0x0
	.size	__hip_cuid_10e99bbb2604ae0d, 1

	.ident	"AMD clang version 19.0.0git (https://github.com/RadeonOpenCompute/llvm-project roc-6.4.0 25133 c7fe45cf4b819c5991fe208aaa96edf142730f1d)"
	.section	".note.GNU-stack","",@progbits
	.addrsig
	.addrsig_sym __hip_cuid_10e99bbb2604ae0d
	.amdgpu_metadata
---
amdhsa.kernels:
  - .args:
      - .actual_access:  read_only
        .address_space:  global
        .offset:         0
        .size:           8
        .value_kind:     global_buffer
      - .offset:         8
        .size:           8
        .value_kind:     by_value
      - .actual_access:  read_only
        .address_space:  global
        .offset:         16
        .size:           8
        .value_kind:     global_buffer
      - .actual_access:  read_only
        .address_space:  global
        .offset:         24
        .size:           8
        .value_kind:     global_buffer
      - .actual_access:  read_only
        .address_space:  global
        .offset:         32
        .size:           8
        .value_kind:     global_buffer
      - .offset:         40
        .size:           8
        .value_kind:     by_value
      - .actual_access:  read_only
        .address_space:  global
        .offset:         48
        .size:           8
        .value_kind:     global_buffer
      - .actual_access:  read_only
        .address_space:  global
        .offset:         56
        .size:           8
        .value_kind:     global_buffer
      - .offset:         64
        .size:           4
        .value_kind:     by_value
      - .actual_access:  read_only
        .address_space:  global
        .offset:         72
        .size:           8
        .value_kind:     global_buffer
      - .actual_access:  read_only
        .address_space:  global
        .offset:         80
        .size:           8
        .value_kind:     global_buffer
      - .actual_access:  read_only
        .address_space:  global
        .offset:         88
        .size:           8
        .value_kind:     global_buffer
      - .actual_access:  write_only
        .address_space:  global
        .offset:         96
        .size:           8
        .value_kind:     global_buffer
    .group_segment_fixed_size: 0
    .kernarg_segment_align: 8
    .kernarg_segment_size: 104
    .language:       OpenCL C
    .language_version:
      - 2
      - 0
    .max_flat_workgroup_size: 231
    .name:           fft_rtc_fwd_len264_factors_8_3_11_wgs_231_tpt_33_half_op_CI_CI_unitstride_sbrr_dirReg
    .private_segment_fixed_size: 0
    .sgpr_count:     29
    .sgpr_spill_count: 0
    .symbol:         fft_rtc_fwd_len264_factors_8_3_11_wgs_231_tpt_33_half_op_CI_CI_unitstride_sbrr_dirReg.kd
    .uniform_work_group_size: 1
    .uses_dynamic_stack: false
    .vgpr_count:     120
    .vgpr_spill_count: 0
    .wavefront_size: 32
    .workgroup_processor_mode: 1
amdhsa.target:   amdgcn-amd-amdhsa--gfx1030
amdhsa.version:
  - 1
  - 2
...

	.end_amdgpu_metadata
